;; amdgpu-corpus repo=ROCm/rocFFT kind=compiled arch=gfx1030 opt=O3
	.text
	.amdgcn_target "amdgcn-amd-amdhsa--gfx1030"
	.amdhsa_code_object_version 6
	.protected	fft_rtc_back_len605_factors_11_5_11_wgs_55_tpt_55_dp_ip_CI_sbrr_dirReg ; -- Begin function fft_rtc_back_len605_factors_11_5_11_wgs_55_tpt_55_dp_ip_CI_sbrr_dirReg
	.globl	fft_rtc_back_len605_factors_11_5_11_wgs_55_tpt_55_dp_ip_CI_sbrr_dirReg
	.p2align	8
	.type	fft_rtc_back_len605_factors_11_5_11_wgs_55_tpt_55_dp_ip_CI_sbrr_dirReg,@function
fft_rtc_back_len605_factors_11_5_11_wgs_55_tpt_55_dp_ip_CI_sbrr_dirReg: ; @fft_rtc_back_len605_factors_11_5_11_wgs_55_tpt_55_dp_ip_CI_sbrr_dirReg
; %bb.0:
	s_clause 0x2
	s_load_dwordx2 s[14:15], s[4:5], 0x18
	s_load_dwordx4 s[8:11], s[4:5], 0x0
	s_load_dwordx2 s[12:13], s[4:5], 0x50
	v_mul_u32_u24_e32 v1, 0x4a8, v0
	v_mov_b32_e32 v3, 0
	v_add_nc_u32_sdwa v5, s6, v1 dst_sel:DWORD dst_unused:UNUSED_PAD src0_sel:DWORD src1_sel:WORD_1
	v_mov_b32_e32 v1, 0
	v_mov_b32_e32 v6, v3
	v_mov_b32_e32 v2, 0
	s_waitcnt lgkmcnt(0)
	s_load_dwordx2 s[2:3], s[14:15], 0x0
	v_cmp_lt_u64_e64 s0, s[10:11], 2
	s_and_b32 vcc_lo, exec_lo, s0
	s_cbranch_vccnz .LBB0_8
; %bb.1:
	s_load_dwordx2 s[0:1], s[4:5], 0x10
	v_mov_b32_e32 v1, 0
	s_add_u32 s6, s14, 8
	v_mov_b32_e32 v2, 0
	s_addc_u32 s7, s15, 0
	s_mov_b64 s[18:19], 1
	s_waitcnt lgkmcnt(0)
	s_add_u32 s16, s0, 8
	s_addc_u32 s17, s1, 0
.LBB0_2:                                ; =>This Inner Loop Header: Depth=1
	s_load_dwordx2 s[20:21], s[16:17], 0x0
                                        ; implicit-def: $vgpr7_vgpr8
	s_mov_b32 s0, exec_lo
	s_waitcnt lgkmcnt(0)
	v_or_b32_e32 v4, s21, v6
	v_cmpx_ne_u64_e32 0, v[3:4]
	s_xor_b32 s1, exec_lo, s0
	s_cbranch_execz .LBB0_4
; %bb.3:                                ;   in Loop: Header=BB0_2 Depth=1
	v_cvt_f32_u32_e32 v4, s20
	v_cvt_f32_u32_e32 v7, s21
	s_sub_u32 s0, 0, s20
	s_subb_u32 s22, 0, s21
	v_fmac_f32_e32 v4, 0x4f800000, v7
	v_rcp_f32_e32 v4, v4
	v_mul_f32_e32 v4, 0x5f7ffffc, v4
	v_mul_f32_e32 v7, 0x2f800000, v4
	v_trunc_f32_e32 v7, v7
	v_fmac_f32_e32 v4, 0xcf800000, v7
	v_cvt_u32_f32_e32 v7, v7
	v_cvt_u32_f32_e32 v4, v4
	v_mul_lo_u32 v8, s0, v7
	v_mul_hi_u32 v9, s0, v4
	v_mul_lo_u32 v10, s22, v4
	v_add_nc_u32_e32 v8, v9, v8
	v_mul_lo_u32 v9, s0, v4
	v_add_nc_u32_e32 v8, v8, v10
	v_mul_hi_u32 v10, v4, v9
	v_mul_lo_u32 v11, v4, v8
	v_mul_hi_u32 v12, v4, v8
	v_mul_hi_u32 v13, v7, v9
	v_mul_lo_u32 v9, v7, v9
	v_mul_hi_u32 v14, v7, v8
	v_mul_lo_u32 v8, v7, v8
	v_add_co_u32 v10, vcc_lo, v10, v11
	v_add_co_ci_u32_e32 v11, vcc_lo, 0, v12, vcc_lo
	v_add_co_u32 v9, vcc_lo, v10, v9
	v_add_co_ci_u32_e32 v9, vcc_lo, v11, v13, vcc_lo
	v_add_co_ci_u32_e32 v10, vcc_lo, 0, v14, vcc_lo
	v_add_co_u32 v8, vcc_lo, v9, v8
	v_add_co_ci_u32_e32 v9, vcc_lo, 0, v10, vcc_lo
	v_add_co_u32 v4, vcc_lo, v4, v8
	v_add_co_ci_u32_e32 v7, vcc_lo, v7, v9, vcc_lo
	v_mul_hi_u32 v8, s0, v4
	v_mul_lo_u32 v10, s22, v4
	v_mul_lo_u32 v9, s0, v7
	v_add_nc_u32_e32 v8, v8, v9
	v_mul_lo_u32 v9, s0, v4
	v_add_nc_u32_e32 v8, v8, v10
	v_mul_hi_u32 v10, v4, v9
	v_mul_lo_u32 v11, v4, v8
	v_mul_hi_u32 v12, v4, v8
	v_mul_hi_u32 v13, v7, v9
	v_mul_lo_u32 v9, v7, v9
	v_mul_hi_u32 v14, v7, v8
	v_mul_lo_u32 v8, v7, v8
	v_add_co_u32 v10, vcc_lo, v10, v11
	v_add_co_ci_u32_e32 v11, vcc_lo, 0, v12, vcc_lo
	v_add_co_u32 v9, vcc_lo, v10, v9
	v_add_co_ci_u32_e32 v9, vcc_lo, v11, v13, vcc_lo
	v_add_co_ci_u32_e32 v10, vcc_lo, 0, v14, vcc_lo
	v_add_co_u32 v8, vcc_lo, v9, v8
	v_add_co_ci_u32_e32 v9, vcc_lo, 0, v10, vcc_lo
	v_add_co_u32 v4, vcc_lo, v4, v8
	v_add_co_ci_u32_e32 v11, vcc_lo, v7, v9, vcc_lo
	v_mul_hi_u32 v13, v5, v4
	v_mad_u64_u32 v[9:10], null, v6, v4, 0
	v_mad_u64_u32 v[7:8], null, v5, v11, 0
	;; [unrolled: 1-line block ×3, first 2 shown]
	v_add_co_u32 v4, vcc_lo, v13, v7
	v_add_co_ci_u32_e32 v7, vcc_lo, 0, v8, vcc_lo
	v_add_co_u32 v4, vcc_lo, v4, v9
	v_add_co_ci_u32_e32 v4, vcc_lo, v7, v10, vcc_lo
	v_add_co_ci_u32_e32 v7, vcc_lo, 0, v12, vcc_lo
	v_add_co_u32 v4, vcc_lo, v4, v11
	v_add_co_ci_u32_e32 v9, vcc_lo, 0, v7, vcc_lo
	v_mul_lo_u32 v10, s21, v4
	v_mad_u64_u32 v[7:8], null, s20, v4, 0
	v_mul_lo_u32 v11, s20, v9
	v_sub_co_u32 v7, vcc_lo, v5, v7
	v_add3_u32 v8, v8, v11, v10
	v_sub_nc_u32_e32 v10, v6, v8
	v_subrev_co_ci_u32_e64 v10, s0, s21, v10, vcc_lo
	v_add_co_u32 v11, s0, v4, 2
	v_add_co_ci_u32_e64 v12, s0, 0, v9, s0
	v_sub_co_u32 v13, s0, v7, s20
	v_sub_co_ci_u32_e32 v8, vcc_lo, v6, v8, vcc_lo
	v_subrev_co_ci_u32_e64 v10, s0, 0, v10, s0
	v_cmp_le_u32_e32 vcc_lo, s20, v13
	v_cmp_eq_u32_e64 s0, s21, v8
	v_cndmask_b32_e64 v13, 0, -1, vcc_lo
	v_cmp_le_u32_e32 vcc_lo, s21, v10
	v_cndmask_b32_e64 v14, 0, -1, vcc_lo
	v_cmp_le_u32_e32 vcc_lo, s20, v7
	;; [unrolled: 2-line block ×3, first 2 shown]
	v_cndmask_b32_e64 v15, 0, -1, vcc_lo
	v_cmp_eq_u32_e32 vcc_lo, s21, v10
	v_cndmask_b32_e64 v7, v15, v7, s0
	v_cndmask_b32_e32 v10, v14, v13, vcc_lo
	v_add_co_u32 v13, vcc_lo, v4, 1
	v_add_co_ci_u32_e32 v14, vcc_lo, 0, v9, vcc_lo
	v_cmp_ne_u32_e32 vcc_lo, 0, v10
	v_cndmask_b32_e32 v8, v14, v12, vcc_lo
	v_cndmask_b32_e32 v10, v13, v11, vcc_lo
	v_cmp_ne_u32_e32 vcc_lo, 0, v7
	v_cndmask_b32_e32 v8, v9, v8, vcc_lo
	v_cndmask_b32_e32 v7, v4, v10, vcc_lo
.LBB0_4:                                ;   in Loop: Header=BB0_2 Depth=1
	s_andn2_saveexec_b32 s0, s1
	s_cbranch_execz .LBB0_6
; %bb.5:                                ;   in Loop: Header=BB0_2 Depth=1
	v_cvt_f32_u32_e32 v4, s20
	s_sub_i32 s1, 0, s20
	v_rcp_iflag_f32_e32 v4, v4
	v_mul_f32_e32 v4, 0x4f7ffffe, v4
	v_cvt_u32_f32_e32 v4, v4
	v_mul_lo_u32 v7, s1, v4
	v_mul_hi_u32 v7, v4, v7
	v_add_nc_u32_e32 v4, v4, v7
	v_mul_hi_u32 v4, v5, v4
	v_mul_lo_u32 v7, v4, s20
	v_add_nc_u32_e32 v8, 1, v4
	v_sub_nc_u32_e32 v7, v5, v7
	v_subrev_nc_u32_e32 v9, s20, v7
	v_cmp_le_u32_e32 vcc_lo, s20, v7
	v_cndmask_b32_e32 v7, v7, v9, vcc_lo
	v_cndmask_b32_e32 v4, v4, v8, vcc_lo
	v_cmp_le_u32_e32 vcc_lo, s20, v7
	v_add_nc_u32_e32 v8, 1, v4
	v_cndmask_b32_e32 v7, v4, v8, vcc_lo
	v_mov_b32_e32 v8, v3
.LBB0_6:                                ;   in Loop: Header=BB0_2 Depth=1
	s_or_b32 exec_lo, exec_lo, s0
	s_load_dwordx2 s[0:1], s[6:7], 0x0
	v_mul_lo_u32 v4, v8, s20
	v_mul_lo_u32 v11, v7, s21
	v_mad_u64_u32 v[9:10], null, v7, s20, 0
	s_add_u32 s18, s18, 1
	s_addc_u32 s19, s19, 0
	s_add_u32 s6, s6, 8
	s_addc_u32 s7, s7, 0
	;; [unrolled: 2-line block ×3, first 2 shown]
	v_add3_u32 v4, v10, v11, v4
	v_sub_co_u32 v5, vcc_lo, v5, v9
	v_sub_co_ci_u32_e32 v4, vcc_lo, v6, v4, vcc_lo
	s_waitcnt lgkmcnt(0)
	v_mul_lo_u32 v6, s1, v5
	v_mul_lo_u32 v4, s0, v4
	v_mad_u64_u32 v[1:2], null, s0, v5, v[1:2]
	v_cmp_ge_u64_e64 s0, s[18:19], s[10:11]
	s_and_b32 vcc_lo, exec_lo, s0
	v_add3_u32 v2, v6, v2, v4
	s_cbranch_vccnz .LBB0_9
; %bb.7:                                ;   in Loop: Header=BB0_2 Depth=1
	v_mov_b32_e32 v5, v7
	v_mov_b32_e32 v6, v8
	s_branch .LBB0_2
.LBB0_8:
	v_mov_b32_e32 v8, v6
	v_mov_b32_e32 v7, v5
.LBB0_9:
	s_lshl_b64 s[0:1], s[10:11], 3
	v_mul_hi_u32 v3, 0x4a7904b, v0
	s_add_u32 s0, s14, s0
	s_addc_u32 s1, s15, s1
	s_load_dwordx2 s[0:1], s[0:1], 0x0
	s_load_dwordx2 s[4:5], s[4:5], 0x20
	v_mul_u32_u24_e32 v3, 55, v3
	v_sub_nc_u32_e32 v60, v0, v3
	v_add_nc_u32_e32 v62, 55, v60
	v_add_nc_u32_e32 v61, 0x6e, v60
	s_waitcnt lgkmcnt(0)
	v_mul_lo_u32 v4, s0, v8
	v_mul_lo_u32 v5, s1, v7
	v_mad_u64_u32 v[1:2], null, s0, v7, v[1:2]
	v_cmp_gt_u64_e32 vcc_lo, s[4:5], v[7:8]
	v_cmp_le_u64_e64 s0, s[4:5], v[7:8]
                                        ; implicit-def: $sgpr4
	v_add3_u32 v2, v5, v2, v4
	s_and_saveexec_b32 s1, s0
	s_xor_b32 s0, exec_lo, s1
; %bb.10:
	v_add_nc_u32_e32 v62, 55, v60
	v_add_nc_u32_e32 v61, 0x6e, v60
	s_mov_b32 s4, 0
; %bb.11:
	s_or_saveexec_b32 s1, s0
	v_lshlrev_b64 v[84:85], 4, v[1:2]
	v_mov_b32_e32 v90, s4
                                        ; implicit-def: $vgpr2_vgpr3
                                        ; implicit-def: $vgpr10_vgpr11
                                        ; implicit-def: $vgpr14_vgpr15
                                        ; implicit-def: $vgpr18_vgpr19
                                        ; implicit-def: $vgpr22_vgpr23
                                        ; implicit-def: $vgpr26_vgpr27
                                        ; implicit-def: $vgpr34_vgpr35
                                        ; implicit-def: $vgpr38_vgpr39
                                        ; implicit-def: $vgpr42_vgpr43
                                        ; implicit-def: $vgpr30_vgpr31
                                        ; implicit-def: $vgpr6_vgpr7
	s_xor_b32 exec_lo, exec_lo, s1
	s_cbranch_execz .LBB0_13
; %bb.12:
	v_mad_u64_u32 v[0:1], null, s2, v60, 0
	v_mad_u64_u32 v[2:3], null, s2, v62, 0
	;; [unrolled: 1-line block ×3, first 2 shown]
	v_add_nc_u32_e32 v7, 0xa5, v60
	v_add_co_u32 v21, s0, s12, v84
	v_add_co_ci_u32_e64 v22, s0, s13, v85, s0
	v_mad_u64_u32 v[4:5], null, s3, v60, v[1:2]
	v_mov_b32_e32 v1, v3
	v_mad_u64_u32 v[10:11], null, s2, v7, 0
	v_add_nc_u32_e32 v17, 0xdc, v60
	v_add_nc_u32_e32 v18, 0x113, v60
	v_mad_u64_u32 v[5:6], null, s3, v62, v[1:2]
	v_mov_b32_e32 v1, v4
	v_mov_b32_e32 v4, v9
	v_mad_u64_u32 v[12:13], null, s2, v17, 0
	v_add_nc_u32_e32 v20, 0x1b8, v60
	v_lshlrev_b64 v[0:1], 4, v[0:1]
	v_mov_b32_e32 v3, v5
	v_mad_u64_u32 v[4:5], null, s3, v61, v[4:5]
	v_mov_b32_e32 v5, v11
	v_mov_b32_e32 v11, v13
	v_lshlrev_b64 v[2:3], 4, v[2:3]
	v_add_co_u32 v0, s0, v21, v0
	v_add_co_ci_u32_e64 v1, s0, v22, v1, s0
	v_mov_b32_e32 v9, v4
	v_add_co_u32 v2, s0, v21, v2
	v_add_co_ci_u32_e64 v3, s0, v22, v3, s0
	v_mad_u64_u32 v[14:15], null, s3, v7, v[5:6]
	s_clause 0x1
	global_load_dwordx4 v[4:7], v[0:1], off
	global_load_dwordx4 v[28:31], v[2:3], off
	v_mad_u64_u32 v[15:16], null, s2, v18, 0
	v_mad_u64_u32 v[2:3], null, s3, v17, v[11:12]
	v_lshlrev_b64 v[0:1], 4, v[8:9]
	v_mov_b32_e32 v11, v14
	v_add_nc_u32_e32 v23, 0x1ef, v60
	v_add_nc_u32_e32 v44, 0x226, v60
	v_mov_b32_e32 v3, v16
	v_mov_b32_e32 v90, v60
	;; [unrolled: 1-line block ×3, first 2 shown]
	v_lshlrev_b64 v[8:9], 4, v[10:11]
	v_add_co_u32 v0, s0, v21, v0
	v_add_co_ci_u32_e64 v1, s0, v22, v1, s0
	v_lshlrev_b64 v[10:11], 4, v[12:13]
	v_add_co_u32 v8, s0, v21, v8
	v_add_co_ci_u32_e64 v9, s0, v22, v9, s0
	s_clause 0x1
	global_load_dwordx4 v[40:43], v[0:1], off
	global_load_dwordx4 v[36:39], v[8:9], off
	v_add_co_u32 v0, s0, v21, v10
	v_add_co_ci_u32_e64 v1, s0, v22, v11, s0
	s_waitcnt vmcnt(3)
	v_mad_u64_u32 v[2:3], null, s3, v18, v[3:4]
	v_add_nc_u32_e32 v3, 0x14a, v60
	v_add_nc_u32_e32 v18, 0x181, v60
	v_mad_u64_u32 v[12:13], null, s2, v3, 0
	v_mov_b32_e32 v16, v2
	v_mad_u64_u32 v[10:11], null, s2, v18, 0
	v_lshlrev_b64 v[8:9], 4, v[15:16]
	v_mov_b32_e32 v2, v13
	v_mad_u64_u32 v[14:15], null, s2, v20, 0
	v_mad_u64_u32 v[16:17], null, s2, v23, 0
	;; [unrolled: 1-line block ×3, first 2 shown]
	v_add_co_u32 v8, s0, v21, v8
	v_mov_b32_e32 v3, v15
	v_add_co_ci_u32_e64 v9, s0, v22, v9, s0
	s_clause 0x1
	global_load_dwordx4 v[32:35], v[0:1], off
	global_load_dwordx4 v[24:27], v[8:9], off
	v_mov_b32_e32 v13, v2
	v_mov_b32_e32 v2, v11
	;; [unrolled: 1-line block ×3, first 2 shown]
	v_lshlrev_b64 v[8:9], 4, v[12:13]
	v_mad_u64_u32 v[18:19], null, s3, v18, v[2:3]
	v_mad_u64_u32 v[2:3], null, s3, v20, v[3:4]
	;; [unrolled: 1-line block ×4, first 2 shown]
	v_mov_b32_e32 v11, v18
	v_mov_b32_e32 v15, v2
	v_add_co_u32 v2, s0, v21, v8
	v_mov_b32_e32 v1, v20
	v_add_co_ci_u32_e64 v3, s0, v22, v9, s0
	v_lshlrev_b64 v[8:9], 4, v[10:11]
	v_mov_b32_e32 v17, v0
	v_mad_u64_u32 v[10:11], null, s3, v44, v[1:2]
	v_lshlrev_b64 v[11:12], 4, v[14:15]
	v_add_co_u32 v0, s0, v21, v8
	v_add_co_ci_u32_e64 v1, s0, v22, v9, s0
	v_mov_b32_e32 v20, v10
	v_lshlrev_b64 v[8:9], 4, v[16:17]
	v_add_co_u32 v10, s0, v21, v11
	v_add_co_ci_u32_e64 v11, s0, v22, v12, s0
	v_lshlrev_b64 v[12:13], 4, v[19:20]
	v_add_co_u32 v8, s0, v21, v8
	v_add_co_ci_u32_e64 v9, s0, v22, v9, s0
	v_add_co_u32 v44, s0, v21, v12
	v_add_co_ci_u32_e64 v45, s0, v22, v13, s0
	s_clause 0x4
	global_load_dwordx4 v[20:23], v[2:3], off
	global_load_dwordx4 v[16:19], v[0:1], off
	global_load_dwordx4 v[12:15], v[10:11], off
	global_load_dwordx4 v[8:11], v[8:9], off
	global_load_dwordx4 v[0:3], v[44:45], off
.LBB0_13:
	s_or_b32 exec_lo, exec_lo, s1
	s_waitcnt vmcnt(9)
	v_add_f64 v[63:64], v[28:29], v[4:5]
	v_add_f64 v[65:66], v[30:31], v[6:7]
	s_waitcnt vmcnt(1)
	v_add_f64 v[52:53], v[8:9], v[40:41]
	v_add_f64 v[54:55], v[10:11], v[42:43]
	v_add_f64 v[73:74], v[40:41], -v[8:9]
	v_add_f64 v[75:76], v[42:43], -v[10:11]
	s_waitcnt vmcnt(0)
	v_add_f64 v[67:68], v[30:31], -v[2:3]
	v_add_f64 v[44:45], v[12:13], v[36:37]
	v_add_f64 v[46:47], v[14:15], v[38:39]
	v_add_f64 v[69:70], v[36:37], -v[12:13]
	v_add_f64 v[71:72], v[38:39], -v[14:15]
	v_add_f64 v[88:89], v[0:1], v[28:29]
	v_add_f64 v[28:29], v[28:29], -v[0:1]
	s_mov_b32 s24, 0xf8bb580b
	s_mov_b32 s16, 0x43842ef
	;; [unrolled: 1-line block ×4, first 2 shown]
	v_add_f64 v[48:49], v[16:17], v[32:33]
	v_add_f64 v[50:51], v[18:19], v[34:35]
	v_add_f64 v[77:78], v[32:33], -v[16:17]
	v_add_f64 v[79:80], v[34:35], -v[18:19]
	v_add_f64 v[30:31], v[2:3], v[30:31]
	v_add_f64 v[40:41], v[40:41], v[63:64]
	;; [unrolled: 1-line block ×3, first 2 shown]
	s_mov_b32 s22, 0xfd768dbf
	s_mov_b32 s0, 0x8764f0ba
	;; [unrolled: 1-line block ×4, first 2 shown]
	v_mul_f64 v[63:64], v[67:68], s[16:17]
	s_mov_b32 s18, 0x8eee2c13
	s_mov_b32 s23, 0xbfd207e7
	;; [unrolled: 1-line block ×5, first 2 shown]
	v_mul_f64 v[91:92], v[28:29], s[24:25]
	v_mul_f64 v[95:96], v[28:29], s[16:17]
	s_mov_b32 s28, s22
	v_add_f64 v[58:59], v[20:21], v[24:25]
	v_add_f64 v[56:57], v[22:23], v[26:27]
	v_add_f64 v[81:82], v[24:25], -v[20:21]
	v_add_f64 v[86:87], v[26:27], -v[22:23]
	v_mul_f64 v[93:94], v[28:29], s[18:19]
	v_mul_f64 v[99:100], v[75:76], s[18:19]
	;; [unrolled: 1-line block ×3, first 2 shown]
	v_add_f64 v[36:37], v[36:37], v[40:41]
	v_add_f64 v[38:39], v[38:39], v[42:43]
	v_mul_f64 v[40:41], v[67:68], s[24:25]
	v_mul_f64 v[42:43], v[67:68], s[18:19]
	;; [unrolled: 1-line block ×4, first 2 shown]
	v_fma_f64 v[151:152], v[88:89], s[10:11], v[63:64]
	s_mov_b32 s20, 0xbb3a28a1
	s_mov_b32 s14, 0xd9c712b6
	;; [unrolled: 1-line block ×5, first 2 shown]
	v_fma_f64 v[137:138], v[30:31], s[0:1], -v[91:92]
	v_fma_f64 v[155:156], v[30:31], s[10:11], -v[95:96]
	s_mov_b32 s7, 0xbfeeb42a
	s_mov_b32 s19, 0x3fed1bb4
	v_mul_f64 v[65:66], v[67:68], s[20:21]
	v_mul_f64 v[67:68], v[67:68], s[22:23]
	;; [unrolled: 1-line block ×6, first 2 shown]
	v_add_f64 v[32:33], v[32:33], v[36:37]
	v_add_f64 v[34:35], v[34:35], v[38:39]
	v_fma_f64 v[135:136], v[88:89], s[0:1], v[40:41]
	v_mul_f64 v[36:37], v[69:70], s[16:17]
	v_mul_f64 v[113:114], v[73:74], s[20:21]
	v_mul_f64 v[143:144], v[71:72], s[18:19]
	v_mul_f64 v[145:146], v[69:70], s[18:19]
	v_fma_f64 v[147:148], v[88:89], s[14:15], v[42:43]
	v_fma_f64 v[149:150], v[30:31], s[14:15], -v[93:94]
	v_fma_f64 v[157:158], v[52:53], s[14:15], v[99:100]
	v_fma_f64 v[159:160], v[54:55], s[14:15], -v[101:102]
	v_fma_f64 v[167:168], v[52:53], s[6:7], v[127:128]
	v_add_f64 v[137:138], v[6:7], v[137:138]
	v_fma_f64 v[169:170], v[54:55], s[6:7], -v[129:130]
	v_add_f64 v[151:152], v[4:5], v[151:152]
	v_add_f64 v[155:156], v[6:7], v[155:156]
	s_mov_b32 s4, 0x7f775887
	s_mov_b32 s5, 0xbfe4f49e
	;; [unrolled: 1-line block ×4, first 2 shown]
	v_mul_f64 v[38:39], v[79:80], s[20:21]
	v_mul_f64 v[105:106], v[77:78], s[20:21]
	v_add_f64 v[24:25], v[24:25], v[32:33]
	v_add_f64 v[26:27], v[26:27], v[34:35]
	;; [unrolled: 1-line block ×3, first 2 shown]
	v_mul_f64 v[131:132], v[79:80], s[24:25]
	v_mul_f64 v[133:134], v[77:78], s[24:25]
	;; [unrolled: 1-line block ×4, first 2 shown]
	v_fma_f64 v[40:41], v[88:89], s[0:1], -v[40:41]
	v_fma_f64 v[42:43], v[88:89], s[14:15], -v[42:43]
	;; [unrolled: 1-line block ×3, first 2 shown]
	v_fma_f64 v[153:154], v[88:89], s[4:5], v[65:66]
	v_add_f64 v[147:148], v[4:5], v[147:148]
	v_add_f64 v[149:150], v[6:7], v[149:150]
	v_fma_f64 v[161:162], v[30:31], s[4:5], -v[97:98]
	v_fma_f64 v[97:98], v[30:31], s[4:5], v[97:98]
	v_fma_f64 v[163:164], v[44:45], s[10:11], v[103:104]
	v_fma_f64 v[165:166], v[46:47], s[10:11], -v[36:37]
	v_add_f64 v[137:138], v[159:160], v[137:138]
	v_fma_f64 v[179:180], v[44:45], s[14:15], v[143:144]
	v_fma_f64 v[181:182], v[46:47], s[14:15], -v[145:146]
	v_add_f64 v[151:152], v[167:168], v[151:152]
	v_add_f64 v[155:156], v[169:170], v[155:156]
	;; [unrolled: 1-line block ×4, first 2 shown]
	v_fma_f64 v[24:25], v[88:89], s[4:5], -v[65:66]
	v_fma_f64 v[26:27], v[88:89], s[6:7], v[67:68]
	v_fma_f64 v[65:66], v[88:89], s[6:7], -v[67:68]
	v_fma_f64 v[67:68], v[30:31], s[0:1], v[91:92]
	v_fma_f64 v[88:89], v[30:31], s[14:15], v[93:94]
	;; [unrolled: 1-line block ×4, first 2 shown]
	v_fma_f64 v[95:96], v[54:55], s[4:5], -v[113:114]
	v_add_f64 v[135:136], v[157:158], v[135:136]
	s_mov_b32 s27, 0x3fe14ced
	s_mov_b32 s26, s24
	v_mul_f64 v[117:118], v[69:70], s[28:29]
	v_mul_f64 v[139:140], v[71:72], s[24:25]
	;; [unrolled: 1-line block ×5, first 2 shown]
	v_fma_f64 v[175:176], v[52:53], s[10:11], v[32:33]
	v_fma_f64 v[177:178], v[54:55], s[10:11], -v[34:35]
	v_add_f64 v[137:138], v[165:166], v[137:138]
	v_add_f64 v[42:43], v[4:5], v[42:43]
	;; [unrolled: 1-line block ×4, first 2 shown]
	v_fma_f64 v[20:21], v[30:31], s[6:7], -v[28:29]
	v_fma_f64 v[22:23], v[30:31], s[6:7], v[28:29]
	v_fma_f64 v[28:29], v[48:49], s[4:5], v[38:39]
	v_fma_f64 v[30:31], v[50:51], s[4:5], -v[105:106]
	v_add_f64 v[88:89], v[6:7], v[88:89]
	v_add_f64 v[63:64], v[4:5], v[63:64]
	;; [unrolled: 1-line block ×4, first 2 shown]
	v_fma_f64 v[147:148], v[48:49], s[0:1], v[131:132]
	v_fma_f64 v[149:150], v[50:51], s[0:1], -v[133:134]
	v_add_f64 v[135:136], v[163:164], v[135:136]
	v_add_f64 v[91:92], v[6:7], v[91:92]
	;; [unrolled: 1-line block ×5, first 2 shown]
	v_mul_f64 v[115:116], v[71:72], s[28:29]
	v_fma_f64 v[159:160], v[46:47], s[6:7], -v[117:118]
	v_fma_f64 v[32:33], v[52:53], s[10:11], -v[32:33]
	v_fma_f64 v[34:35], v[54:55], s[10:11], v[34:35]
	v_mul_f64 v[71:72], v[71:72], s[20:21]
	v_add_f64 v[12:13], v[12:13], v[16:17]
	v_add_f64 v[14:15], v[14:15], v[18:19]
	;; [unrolled: 1-line block ×13, first 2 shown]
	v_fma_f64 v[135:136], v[44:45], s[0:1], v[139:140]
	v_fma_f64 v[137:138], v[46:47], s[0:1], -v[141:142]
	v_mul_f64 v[69:70], v[69:70], s[20:21]
	v_fma_f64 v[99:100], v[52:53], s[14:15], -v[99:100]
	v_fma_f64 v[101:102], v[54:55], s[14:15], v[101:102]
	v_fma_f64 v[111:112], v[52:53], s[4:5], -v[111:112]
	v_fma_f64 v[113:114], v[54:55], s[4:5], v[113:114]
	v_mul_f64 v[119:120], v[79:80], s[30:31]
	v_mul_f64 v[121:122], v[77:78], s[30:31]
	v_fma_f64 v[157:158], v[44:45], s[6:7], v[115:116]
	v_add_f64 v[95:96], v[159:160], v[95:96]
	v_mul_f64 v[159:160], v[79:80], s[22:23]
	v_mul_f64 v[161:162], v[77:78], s[22:23]
	v_add_f64 v[40:41], v[175:176], v[40:41]
	v_add_f64 v[67:68], v[177:178], v[67:68]
	;; [unrolled: 1-line block ×4, first 2 shown]
	v_fma_f64 v[34:35], v[44:45], s[0:1], -v[139:140]
	v_add_f64 v[22:23], v[147:148], v[22:23]
	v_add_f64 v[65:66], v[149:150], v[65:66]
	v_fma_f64 v[147:148], v[52:53], s[0:1], v[75:76]
	v_fma_f64 v[149:150], v[54:55], s[0:1], -v[73:74]
	v_fma_f64 v[75:76], v[52:53], s[0:1], -v[75:76]
	v_fma_f64 v[73:74], v[54:55], s[0:1], v[73:74]
	v_fma_f64 v[52:53], v[52:53], s[6:7], -v[127:128]
	v_fma_f64 v[54:55], v[54:55], s[6:7], v[129:130]
	v_fma_f64 v[97:98], v[46:47], s[0:1], v[141:142]
	v_mul_f64 v[79:80], v[79:80], s[18:19]
	v_mul_f64 v[77:78], v[77:78], s[18:19]
	v_add_f64 v[16:17], v[99:100], v[16:17]
	v_add_f64 v[18:19], v[101:102], v[18:19]
	;; [unrolled: 1-line block ×3, first 2 shown]
	v_fma_f64 v[36:37], v[46:47], s[10:11], v[36:37]
	v_mul_f64 v[107:108], v[86:87], s[22:23]
	v_mul_f64 v[109:110], v[81:82], s[22:23]
	v_add_f64 v[40:41], v[135:136], v[40:41]
	v_add_f64 v[67:68], v[137:138], v[67:68]
	v_fma_f64 v[135:136], v[44:45], s[4:5], v[71:72]
	v_fma_f64 v[137:138], v[46:47], s[4:5], -v[69:70]
	v_fma_f64 v[71:72], v[44:45], s[4:5], -v[71:72]
	v_fma_f64 v[69:70], v[46:47], s[4:5], v[69:70]
	v_mul_f64 v[123:124], v[86:87], s[26:27]
	v_add_f64 v[26:27], v[147:148], v[26:27]
	v_add_f64 v[20:21], v[149:150], v[20:21]
	;; [unrolled: 1-line block ×7, first 2 shown]
	v_fma_f64 v[63:64], v[44:45], s[10:11], -v[103:104]
	v_fma_f64 v[75:76], v[44:45], s[6:7], -v[115:116]
	v_fma_f64 v[88:89], v[46:47], s[6:7], v[117:118]
	v_fma_f64 v[44:45], v[44:45], s[14:15], -v[143:144]
	v_fma_f64 v[46:47], v[46:47], s[14:15], v[145:146]
	v_mul_f64 v[125:126], v[81:82], s[26:27]
	v_fma_f64 v[171:172], v[48:49], s[10:11], v[119:120]
	v_fma_f64 v[173:174], v[50:51], s[10:11], -v[121:122]
	v_add_f64 v[93:94], v[157:158], v[93:94]
	v_add_f64 v[8:9], v[8:9], v[12:13]
	;; [unrolled: 1-line block ×3, first 2 shown]
	v_mul_f64 v[12:13], v[86:87], s[20:21]
	v_mul_f64 v[14:15], v[81:82], s[20:21]
	v_fma_f64 v[127:128], v[48:49], s[6:7], v[159:160]
	v_fma_f64 v[129:130], v[50:51], s[6:7], -v[161:162]
	v_mul_f64 v[91:92], v[86:87], s[18:19]
	v_mul_f64 v[99:100], v[81:82], s[18:19]
	v_add_f64 v[24:25], v[34:35], v[24:25]
	v_add_f64 v[32:33], v[97:98], v[32:33]
	v_fma_f64 v[34:35], v[48:49], s[6:7], -v[159:160]
	v_fma_f64 v[97:98], v[50:51], s[6:7], v[161:162]
	v_add_f64 v[26:27], v[135:136], v[26:27]
	v_add_f64 v[20:21], v[137:138], v[20:21]
	v_fma_f64 v[101:102], v[48:49], s[14:15], v[79:80]
	v_fma_f64 v[103:104], v[50:51], s[14:15], -v[77:78]
	v_mul_f64 v[86:87], v[86:87], s[16:17]
	v_mul_f64 v[81:82], v[81:82], s[16:17]
	v_add_f64 v[4:5], v[71:72], v[4:5]
	v_add_f64 v[6:7], v[69:70], v[6:7]
	v_fma_f64 v[69:70], v[48:49], s[14:15], -v[79:80]
	v_fma_f64 v[71:72], v[50:51], s[14:15], v[77:78]
	v_add_f64 v[16:17], v[63:64], v[16:17]
	v_add_f64 v[18:19], v[36:37], v[18:19]
	;; [unrolled: 1-line block ×6, first 2 shown]
	v_fma_f64 v[38:39], v[48:49], s[4:5], -v[38:39]
	v_fma_f64 v[52:53], v[50:51], s[4:5], v[105:106]
	v_fma_f64 v[54:55], v[48:49], s[10:11], -v[119:120]
	v_fma_f64 v[63:64], v[50:51], s[10:11], v[121:122]
	;; [unrolled: 2-line block ×3, first 2 shown]
	v_fma_f64 v[151:152], v[58:59], s[6:7], v[107:108]
	v_fma_f64 v[153:154], v[56:57], s[6:7], -v[109:110]
	v_add_f64 v[93:94], v[171:172], v[93:94]
	v_add_f64 v[95:96], v[173:174], v[95:96]
	v_fma_f64 v[155:156], v[58:59], s[0:1], v[123:124]
	v_fma_f64 v[157:158], v[56:57], s[0:1], -v[125:126]
	v_fma_f64 v[163:164], v[58:59], s[4:5], v[12:13]
	v_fma_f64 v[165:166], v[56:57], s[4:5], -v[14:15]
	v_add_f64 v[40:41], v[127:128], v[40:41]
	v_add_f64 v[67:68], v[129:130], v[67:68]
	v_fma_f64 v[73:74], v[58:59], s[14:15], v[91:92]
	v_fma_f64 v[75:76], v[56:57], s[14:15], -v[99:100]
	v_add_f64 v[24:25], v[34:35], v[24:25]
	v_add_f64 v[32:33], v[97:98], v[32:33]
	v_fma_f64 v[34:35], v[58:59], s[14:15], -v[91:92]
	v_add_f64 v[79:80], v[101:102], v[26:27]
	v_add_f64 v[88:89], v[103:104], v[20:21]
	v_fma_f64 v[91:92], v[58:59], s[10:11], v[86:87]
	v_fma_f64 v[97:98], v[56:57], s[10:11], -v[81:82]
	v_fma_f64 v[77:78], v[56:57], s[14:15], v[99:100]
	v_add_f64 v[69:70], v[69:70], v[4:5]
	v_add_f64 v[71:72], v[71:72], v[6:7]
	v_fma_f64 v[86:87], v[58:59], s[10:11], -v[86:87]
	v_fma_f64 v[81:82], v[56:57], s[10:11], v[81:82]
	v_add_f64 v[36:37], v[54:55], v[36:37]
	v_add_f64 v[54:55], v[63:64], v[42:43]
	;; [unrolled: 1-line block ×4, first 2 shown]
	v_fma_f64 v[46:47], v[58:59], s[6:7], -v[107:108]
	v_fma_f64 v[48:49], v[58:59], s[0:1], -v[123:124]
	;; [unrolled: 1-line block ×3, first 2 shown]
	v_fma_f64 v[58:59], v[56:57], s[4:5], v[14:15]
	v_add_f64 v[38:39], v[38:39], v[16:17]
	v_fma_f64 v[63:64], v[56:57], s[0:1], v[125:126]
	v_add_f64 v[52:53], v[52:53], v[18:19]
	;; [unrolled: 2-line block ×3, first 2 shown]
	v_add_f64 v[6:7], v[2:3], v[10:11]
	v_add_f64 v[8:9], v[151:152], v[28:29]
	;; [unrolled: 1-line block ×21, first 2 shown]
	v_mad_u32_u24 v63, 0xb0, v60, 0
	ds_write_b128 v63, v[4:7]
	ds_write_b128 v63, v[8:11] offset:16
	ds_write_b128 v63, v[12:15] offset:32
	ds_write_b128 v63, v[16:19] offset:48
	ds_write_b128 v63, v[20:23] offset:64
	ds_write_b128 v63, v[28:31] offset:80
	ds_write_b128 v63, v[32:35] offset:96
	ds_write_b128 v63, v[24:27] offset:112
	ds_write_b128 v63, v[40:43] offset:128
	ds_write_b128 v63, v[36:39] offset:144
	ds_write_b128 v63, v[0:3] offset:160
	v_mad_i32_i24 v4, 0xffffff60, v60, v63
	v_lshl_add_u32 v76, v62, 4, 0
	s_waitcnt lgkmcnt(0)
	s_barrier
	buffer_gl0_inv
	ds_read_b128 v[24:27], v4
	ds_read_b128 v[20:23], v76
	ds_read_b128 v[48:51], v4 offset:1936
	ds_read_b128 v[28:31], v4 offset:2816
	;; [unrolled: 1-line block ×8, first 2 shown]
	v_mul_i32_i24_e32 v4, 0xffffff60, v60
	v_cmp_gt_u32_e64 s0, 11, v60
	v_lshl_add_u32 v81, v61, 4, 0
                                        ; implicit-def: $vgpr18_vgpr19
                                        ; implicit-def: $vgpr14_vgpr15
                                        ; implicit-def: $vgpr10_vgpr11
                                        ; implicit-def: $vgpr6_vgpr7
	v_add_nc_u32_e32 v80, v63, v4
	s_and_saveexec_b32 s1, s0
	s_cbranch_execz .LBB0_15
; %bb.14:
	ds_read_b128 v[0:3], v81
	ds_read_b128 v[4:7], v80 offset:3696
	ds_read_b128 v[8:11], v80 offset:5632
	;; [unrolled: 1-line block ×4, first 2 shown]
.LBB0_15:
	s_or_b32 exec_lo, exec_lo, s1
	v_and_b32_e32 v63, 0xff, v60
	v_and_b32_e32 v64, 0xff, v62
	v_mov_b32_e32 v75, 6
	s_mov_b32 s10, 0x134454ff
	s_mov_b32 s11, 0xbfee6f0e
	v_mul_lo_u16 v63, 0x75, v63
	v_mul_lo_u16 v64, 0x75, v64
	s_mov_b32 s17, 0x3fee6f0e
	s_mov_b32 s16, s10
	;; [unrolled: 1-line block ×3, first 2 shown]
	v_lshrrev_b16 v63, 8, v63
	v_lshrrev_b16 v64, 8, v64
	s_mov_b32 s7, 0xbfe2cf23
	s_mov_b32 s15, 0x3fe2cf23
	;; [unrolled: 1-line block ×3, first 2 shown]
	v_sub_nc_u16 v65, v60, v63
	v_sub_nc_u16 v66, v62, v64
	s_mov_b32 s4, 0x372fe950
	s_mov_b32 s5, 0x3fd3c6ef
	v_lshrrev_b16 v65, 1, v65
	v_and_b32_e32 v65, 0x7f, v65
	v_add_nc_u16 v63, v65, v63
	v_lshrrev_b16 v65, 1, v66
	v_lshrrev_b16 v79, 3, v63
	v_and_b32_e32 v63, 0x7f, v65
	v_mul_lo_u16 v65, v79, 11
	v_add_nc_u16 v63, v63, v64
	v_sub_nc_u16 v129, v60, v65
	v_lshrrev_b16 v130, 3, v63
	v_lshlrev_b32_sdwa v77, v75, v129 dst_sel:DWORD dst_unused:UNUSED_PAD src0_sel:DWORD src1_sel:BYTE_0
	v_mul_lo_u16 v71, v130, 11
	s_clause 0x1
	global_load_dwordx4 v[63:66], v77, s[8:9]
	global_load_dwordx4 v[67:70], v77, s[8:9] offset:16
	v_sub_nc_u16 v131, v62, v71
	s_clause 0x1
	global_load_dwordx4 v[71:74], v77, s[8:9] offset:32
	global_load_dwordx4 v[86:89], v77, s[8:9] offset:48
	v_lshlrev_b32_sdwa v62, v75, v131 dst_sel:DWORD dst_unused:UNUSED_PAD src0_sel:DWORD src1_sel:BYTE_0
	s_clause 0x3
	global_load_dwordx4 v[91:94], v62, s[8:9]
	global_load_dwordx4 v[95:98], v62, s[8:9] offset:16
	global_load_dwordx4 v[99:102], v62, s[8:9] offset:32
	;; [unrolled: 1-line block ×3, first 2 shown]
	s_waitcnt vmcnt(0) lgkmcnt(0)
	s_barrier
	buffer_gl0_inv
	v_mul_f64 v[77:78], v[50:51], v[65:66]
	v_mul_f64 v[82:83], v[54:55], v[69:70]
	;; [unrolled: 1-line block ×16, first 2 shown]
	v_fma_f64 v[48:49], v[48:49], v[63:64], v[77:78]
	v_fma_f64 v[52:53], v[52:53], v[67:68], v[82:83]
	v_fma_f64 v[54:55], v[54:55], v[67:68], -v[69:70]
	v_fma_f64 v[56:57], v[56:57], v[71:72], v[107:108]
	v_fma_f64 v[58:59], v[58:59], v[71:72], -v[73:74]
	v_fma_f64 v[50:51], v[50:51], v[63:64], -v[65:66]
	;; [unrolled: 1-line block ×3, first 2 shown]
	v_fma_f64 v[44:45], v[44:45], v[86:87], v[88:89]
	v_fma_f64 v[28:29], v[28:29], v[91:92], v[111:112]
	;; [unrolled: 1-line block ×3, first 2 shown]
	v_fma_f64 v[34:35], v[34:35], v[95:96], -v[97:98]
	v_fma_f64 v[36:37], v[36:37], v[99:100], v[115:116]
	v_fma_f64 v[38:39], v[38:39], v[99:100], -v[101:102]
	v_fma_f64 v[30:31], v[30:31], v[91:92], -v[93:94]
	v_fma_f64 v[40:41], v[40:41], v[103:104], v[117:118]
	v_fma_f64 v[42:43], v[42:43], v[103:104], -v[105:106]
	v_add_f64 v[62:63], v[24:25], v[48:49]
	v_add_f64 v[70:71], v[48:49], -v[52:53]
	v_add_f64 v[77:78], v[52:53], -v[48:49]
	v_add_f64 v[64:65], v[52:53], v[56:57]
	v_add_f64 v[88:89], v[54:55], v[58:59]
	;; [unrolled: 1-line block ×5, first 2 shown]
	v_add_f64 v[72:73], v[44:45], -v[56:57]
	v_add_f64 v[66:67], v[50:51], -v[46:47]
	;; [unrolled: 1-line block ×4, first 2 shown]
	v_add_f64 v[101:102], v[32:33], v[36:37]
	v_add_f64 v[109:110], v[34:35], v[38:39]
	v_add_f64 v[93:94], v[50:51], -v[54:55]
	v_add_f64 v[105:106], v[28:29], v[40:41]
	v_add_f64 v[111:112], v[30:31], v[42:43]
	v_add_f64 v[95:96], v[46:47], -v[58:59]
	v_add_f64 v[50:51], v[54:55], -v[50:51]
	;; [unrolled: 1-line block ×3, first 2 shown]
	v_add_f64 v[103:104], v[20:21], v[28:29]
	v_add_f64 v[68:69], v[54:55], -v[58:59]
	v_add_f64 v[91:92], v[52:53], -v[56:57]
	v_add_f64 v[123:124], v[22:23], v[30:31]
	v_add_f64 v[107:108], v[30:31], -v[42:43]
	v_fma_f64 v[64:65], v[64:65], -0.5, v[24:25]
	v_fma_f64 v[88:89], v[88:89], -0.5, v[26:27]
	v_add_f64 v[115:116], v[28:29], -v[32:33]
	v_fma_f64 v[26:27], v[97:98], -0.5, v[26:27]
	v_fma_f64 v[24:25], v[74:75], -0.5, v[24:25]
	v_add_f64 v[119:120], v[32:33], -v[28:29]
	v_add_f64 v[28:29], v[28:29], -v[40:41]
	v_add_f64 v[52:53], v[62:63], v[52:53]
	v_add_f64 v[62:63], v[70:71], v[72:73]
	v_fma_f64 v[101:102], v[101:102], -0.5, v[20:21]
	v_fma_f64 v[70:71], v[109:110], -0.5, v[22:23]
	v_add_f64 v[113:114], v[34:35], -v[38:39]
	v_add_f64 v[117:118], v[40:41], -v[36:37]
	;; [unrolled: 1-line block ×3, first 2 shown]
	v_fma_f64 v[20:21], v[105:106], -0.5, v[20:21]
	v_fma_f64 v[22:23], v[111:112], -0.5, v[22:23]
	v_add_f64 v[127:128], v[30:31], -v[34:35]
	v_add_f64 v[30:31], v[34:35], -v[30:31]
	;; [unrolled: 1-line block ×3, first 2 shown]
	v_add_f64 v[54:55], v[86:87], v[54:55]
	v_add_f64 v[72:73], v[77:78], v[82:83]
	;; [unrolled: 1-line block ×5, first 2 shown]
	v_fma_f64 v[93:94], v[66:67], s[10:11], v[64:65]
	v_fma_f64 v[99:100], v[48:49], s[16:17], v[88:89]
	v_add_f64 v[34:35], v[123:124], v[34:35]
	v_fma_f64 v[64:65], v[66:67], s[16:17], v[64:65]
	v_fma_f64 v[95:96], v[68:69], s[16:17], v[24:25]
	v_fma_f64 v[24:25], v[68:69], s[10:11], v[24:25]
	v_fma_f64 v[103:104], v[91:92], s[10:11], v[26:27]
	v_fma_f64 v[26:27], v[91:92], s[16:17], v[26:27]
	v_fma_f64 v[88:89], v[48:49], s[10:11], v[88:89]
	v_add_f64 v[74:75], v[42:43], -v[38:39]
	v_fma_f64 v[105:106], v[107:108], s[10:11], v[101:102]
	v_fma_f64 v[111:112], v[28:29], s[16:17], v[70:71]
	v_add_f64 v[121:122], v[36:37], -v[40:41]
	v_add_f64 v[82:83], v[115:116], v[117:118]
	v_fma_f64 v[109:110], v[113:114], s[16:17], v[20:21]
	v_fma_f64 v[115:116], v[125:126], s[10:11], v[22:23]
	;; [unrolled: 1-line block ×6, first 2 shown]
	v_add_f64 v[97:98], v[30:31], v[97:98]
	v_add_f64 v[30:31], v[52:53], v[56:57]
	;; [unrolled: 1-line block ×4, first 2 shown]
	v_fma_f64 v[36:37], v[68:69], s[6:7], v[93:94]
	v_fma_f64 v[58:59], v[91:92], s[14:15], v[99:100]
	v_add_f64 v[34:35], v[34:35], v[38:39]
	v_fma_f64 v[38:39], v[68:69], s[14:15], v[64:65]
	v_fma_f64 v[54:55], v[66:67], s[6:7], v[95:96]
	;; [unrolled: 1-line block ×6, first 2 shown]
	v_add_f64 v[74:75], v[127:128], v[74:75]
	v_fma_f64 v[68:69], v[113:114], s[6:7], v[105:106]
	v_fma_f64 v[95:96], v[125:126], s[14:15], v[111:112]
	v_add_f64 v[86:87], v[119:120], v[121:122]
	v_fma_f64 v[91:92], v[107:108], s[6:7], v[109:110]
	v_fma_f64 v[99:100], v[28:29], s[14:15], v[115:116]
	;; [unrolled: 1-line block ×6, first 2 shown]
	v_add_f64 v[20:21], v[30:31], v[44:45]
	v_add_f64 v[22:23], v[52:53], v[46:47]
	;; [unrolled: 1-line block ×3, first 2 shown]
	v_fma_f64 v[28:29], v[62:63], s[4:5], v[36:37]
	v_fma_f64 v[30:31], v[77:78], s[4:5], v[58:59]
	v_add_f64 v[26:27], v[34:35], v[42:43]
	v_fma_f64 v[32:33], v[62:63], s[4:5], v[38:39]
	v_fma_f64 v[36:37], v[72:73], s[4:5], v[54:55]
	;; [unrolled: 1-line block ×6, first 2 shown]
	v_mov_b32_e32 v103, 0x370
	v_fma_f64 v[44:45], v[82:83], s[4:5], v[68:69]
	v_fma_f64 v[46:47], v[74:75], s[4:5], v[95:96]
	v_mov_b32_e32 v104, 4
	v_fma_f64 v[52:53], v[86:87], s[4:5], v[91:92]
	v_fma_f64 v[54:55], v[97:98], s[4:5], v[99:100]
	v_fma_f64 v[48:49], v[82:83], s[4:5], v[88:89]
	v_fma_f64 v[56:57], v[86:87], s[4:5], v[93:94]
	v_fma_f64 v[58:59], v[97:98], s[4:5], v[101:102]
	v_fma_f64 v[50:51], v[74:75], s[4:5], v[70:71]
	v_mul_u32_u24_sdwa v62, v79, v103 dst_sel:DWORD dst_unused:UNUSED_PAD src0_sel:WORD_0 src1_sel:DWORD
	v_lshlrev_b32_sdwa v63, v104, v129 dst_sel:DWORD dst_unused:UNUSED_PAD src0_sel:DWORD src1_sel:BYTE_0
	v_mul_u32_u24_sdwa v64, v130, v103 dst_sel:DWORD dst_unused:UNUSED_PAD src0_sel:WORD_0 src1_sel:DWORD
	v_lshlrev_b32_sdwa v65, v104, v131 dst_sel:DWORD dst_unused:UNUSED_PAD src0_sel:DWORD src1_sel:BYTE_0
	v_add3_u32 v62, 0, v62, v63
	v_add3_u32 v63, 0, v64, v65
	ds_write_b128 v62, v[20:23]
	ds_write_b128 v62, v[28:31] offset:176
	ds_write_b128 v62, v[36:39] offset:352
	;; [unrolled: 1-line block ×4, first 2 shown]
	ds_write_b128 v63, v[24:27]
	ds_write_b128 v63, v[44:47] offset:176
	ds_write_b128 v63, v[52:55] offset:352
	;; [unrolled: 1-line block ×4, first 2 shown]
	s_and_saveexec_b32 s1, s0
	s_cbranch_execz .LBB0_17
; %bb.16:
	v_and_b32_e32 v20, 0xff, v61
	v_mul_lo_u16 v20, 0x75, v20
	v_lshrrev_b16 v20, 8, v20
	v_sub_nc_u16 v21, v61, v20
	v_lshrrev_b16 v21, 1, v21
	v_and_b32_e32 v21, 0x7f, v21
	v_add_nc_u16 v20, v21, v20
	v_lshrrev_b16 v20, 3, v20
	v_mul_lo_u16 v20, v20, 11
	v_sub_nc_u16 v20, v61, v20
	v_and_b32_e32 v52, 0xff, v20
	v_lshlrev_b32_e32 v32, 6, v52
	s_clause 0x3
	global_load_dwordx4 v[20:23], v32, s[8:9] offset:16
	global_load_dwordx4 v[24:27], v32, s[8:9]
	global_load_dwordx4 v[28:31], v32, s[8:9] offset:48
	global_load_dwordx4 v[32:35], v32, s[8:9] offset:32
	s_waitcnt vmcnt(3)
	v_mul_f64 v[36:37], v[8:9], v[22:23]
	s_waitcnt vmcnt(2)
	v_mul_f64 v[38:39], v[4:5], v[26:27]
	;; [unrolled: 2-line block ×4, first 2 shown]
	v_mul_f64 v[22:23], v[10:11], v[22:23]
	v_mul_f64 v[34:35], v[14:15], v[34:35]
	;; [unrolled: 1-line block ×4, first 2 shown]
	v_fma_f64 v[10:11], v[10:11], v[20:21], -v[36:37]
	v_fma_f64 v[6:7], v[6:7], v[24:25], -v[38:39]
	;; [unrolled: 1-line block ×4, first 2 shown]
	v_fma_f64 v[8:9], v[8:9], v[20:21], v[22:23]
	v_fma_f64 v[12:13], v[12:13], v[32:33], v[34:35]
	;; [unrolled: 1-line block ×4, first 2 shown]
	v_add_f64 v[32:33], v[2:3], v[6:7]
	v_add_f64 v[20:21], v[6:7], v[18:19]
	;; [unrolled: 1-line block ×3, first 2 shown]
	v_add_f64 v[36:37], v[6:7], -v[18:19]
	v_add_f64 v[24:25], v[8:9], v[12:13]
	v_add_f64 v[34:35], v[0:1], v[4:5]
	;; [unrolled: 1-line block ×3, first 2 shown]
	v_add_f64 v[28:29], v[8:9], -v[12:13]
	v_add_f64 v[30:31], v[4:5], -v[16:17]
	;; [unrolled: 1-line block ×8, first 2 shown]
	v_fma_f64 v[20:21], v[20:21], -0.5, v[2:3]
	v_fma_f64 v[2:3], v[22:23], -0.5, v[2:3]
	v_add_f64 v[22:23], v[10:11], -v[14:15]
	v_fma_f64 v[24:25], v[24:25], -0.5, v[0:1]
	v_add_f64 v[8:9], v[34:35], v[8:9]
	v_fma_f64 v[0:1], v[26:27], -0.5, v[0:1]
	v_add_f64 v[26:27], v[10:11], -v[6:7]
	v_add_f64 v[6:7], v[6:7], -v[10:11]
	v_add_f64 v[10:11], v[32:33], v[10:11]
	v_fma_f64 v[32:33], v[28:29], s[16:17], v[20:21]
	v_fma_f64 v[20:21], v[28:29], s[10:11], v[20:21]
	;; [unrolled: 1-line block ×8, first 2 shown]
	v_add_f64 v[26:27], v[26:27], v[38:39]
	v_add_f64 v[38:39], v[6:7], v[40:41]
	;; [unrolled: 1-line block ×6, first 2 shown]
	v_fma_f64 v[8:9], v[30:31], s[6:7], v[32:33]
	v_fma_f64 v[10:11], v[30:31], s[14:15], v[20:21]
	;; [unrolled: 1-line block ×8, first 2 shown]
	v_add_f64 v[2:3], v[4:5], v[18:19]
	v_add_f64 v[0:1], v[6:7], v[16:17]
	v_fma_f64 v[6:7], v[26:27], s[4:5], v[8:9]
	v_fma_f64 v[10:11], v[26:27], s[4:5], v[10:11]
	;; [unrolled: 1-line block ×8, first 2 shown]
	v_lshl_add_u32 v20, v52, 4, 0
	ds_write_b128 v20, v[0:3] offset:8800
	ds_write_b128 v20, v[16:19] offset:8976
	;; [unrolled: 1-line block ×5, first 2 shown]
.LBB0_17:
	s_or_b32 exec_lo, exec_lo, s1
	s_waitcnt lgkmcnt(0)
	s_barrier
	buffer_gl0_inv
	s_and_saveexec_b32 s0, vcc_lo
	s_cbranch_execz .LBB0_19
; %bb.18:
	v_mul_u32_u24_e32 v0, 10, v60
	v_add_nc_u32_e32 v111, 55, v90
	v_add_nc_u32_e32 v112, 0x6e, v90
	;; [unrolled: 1-line block ×4, first 2 shown]
	v_lshlrev_b32_e32 v0, 4, v0
	v_add_nc_u32_e32 v115, 0x113, v90
	v_mad_u64_u32 v[93:94], null, s2, v90, 0
	v_add_nc_u32_e32 v116, 0x14a, v90
	s_clause 0x9
	global_load_dwordx4 v[8:11], v0, s[8:9] offset:768
	global_load_dwordx4 v[4:7], v0, s[8:9] offset:784
	;; [unrolled: 1-line block ×10, first 2 shown]
	v_mad_u64_u32 v[95:96], null, s2, v111, 0
	v_add_nc_u32_e32 v117, 0x181, v90
	v_mad_u64_u32 v[97:98], null, s2, v112, 0
	v_mad_u64_u32 v[99:100], null, s2, v113, 0
	;; [unrolled: 1-line block ×6, first 2 shown]
	v_add_nc_u32_e32 v118, 0x1b8, v90
	v_add_nc_u32_e32 v120, 0x226, v90
	;; [unrolled: 1-line block ×3, first 2 shown]
	v_add_co_u32 v91, vcc_lo, s12, v84
	v_mad_u64_u32 v[109:110], null, s3, v90, v[94:95]
	v_mov_b32_e32 v90, v96
	ds_read_b128 v[52:55], v80 offset:4400
	ds_read_b128 v[64:67], v80 offset:3520
	;; [unrolled: 1-line block ×7, first 2 shown]
	ds_read_b128 v[0:3], v80
	ds_read_b128 v[76:79], v76
	;; [unrolled: 1-line block ×3, first 2 shown]
	ds_read_b128 v[80:83], v80 offset:8800
	v_mov_b32_e32 v94, v98
	v_mov_b32_e32 v96, v100
	;; [unrolled: 1-line block ×3, first 2 shown]
	v_add_co_ci_u32_e32 v92, vcc_lo, s13, v85, vcc_lo
	v_mad_u64_u32 v[84:85], null, s2, v118, 0
	v_mad_u64_u32 v[86:87], null, s2, v120, 0
	v_mov_b32_e32 v100, v104
	v_mad_u64_u32 v[88:89], null, s2, v119, 0
	v_mov_b32_e32 v102, v106
	;; [unrolled: 2-line block ×3, first 2 shown]
	v_mad_u64_u32 v[111:112], null, s3, v112, v[94:95]
	v_mad_u64_u32 v[112:113], null, s3, v113, v[96:97]
	v_mad_u64_u32 v[113:114], null, s3, v114, v[98:99]
	v_mad_u64_u32 v[114:115], null, s3, v115, v[100:101]
	v_mad_u64_u32 v[115:116], null, s3, v116, v[102:103]
	v_mad_u64_u32 v[116:117], null, s3, v117, v[104:105]
	v_mad_u64_u32 v[117:118], null, s3, v118, v[85:86]
	v_mad_u64_u32 v[89:90], null, s3, v119, v[89:90]
	v_mad_u64_u32 v[118:119], null, s3, v120, v[87:88]
	v_mov_b32_e32 v102, v113
	v_mov_b32_e32 v104, v114
	;; [unrolled: 1-line block ×10, first 2 shown]
	v_lshlrev_b64 v[93:94], 4, v[93:94]
	v_lshlrev_b64 v[101:102], 4, v[101:102]
	;; [unrolled: 1-line block ×6, first 2 shown]
	v_add_co_u32 v93, vcc_lo, v91, v93
	v_add_co_ci_u32_e32 v94, vcc_lo, v92, v94, vcc_lo
	v_add_co_u32 v95, vcc_lo, v91, v95
	v_add_co_ci_u32_e32 v96, vcc_lo, v92, v96, vcc_lo
	;; [unrolled: 2-line block ×5, first 2 shown]
	v_lshlrev_b64 v[105:106], 4, v[105:106]
	v_lshlrev_b64 v[107:108], 4, v[107:108]
	s_mov_b32 s18, 0xbb3a28a1
	s_mov_b32 s20, 0xf8bb580b
	;; [unrolled: 1-line block ×23, first 2 shown]
	v_lshlrev_b64 v[84:85], 4, v[84:85]
	v_lshlrev_b64 v[88:89], 4, v[88:89]
	;; [unrolled: 1-line block ×3, first 2 shown]
	s_waitcnt vmcnt(9) lgkmcnt(10)
	v_mul_f64 v[109:110], v[10:11], v[54:55]
	s_waitcnt vmcnt(8) lgkmcnt(8)
	v_mul_f64 v[111:112], v[6:7], v[58:59]
	s_waitcnt vmcnt(7)
	v_mul_f64 v[113:114], v[26:27], v[66:67]
	s_waitcnt vmcnt(6) lgkmcnt(7)
	v_mul_f64 v[115:116], v[22:23], v[70:71]
	v_mul_f64 v[26:27], v[64:65], v[26:27]
	;; [unrolled: 1-line block ×3, first 2 shown]
	s_waitcnt vmcnt(5) lgkmcnt(2)
	v_mul_f64 v[117:118], v[30:31], v[78:79]
	s_waitcnt vmcnt(4) lgkmcnt(0)
	v_mul_f64 v[119:120], v[50:51], v[82:83]
	v_mul_f64 v[30:31], v[76:77], v[30:31]
	;; [unrolled: 1-line block ×5, first 2 shown]
	s_waitcnt vmcnt(3)
	v_mul_f64 v[121:122], v[46:47], v[74:75]
	s_waitcnt vmcnt(2)
	v_mul_f64 v[123:124], v[42:43], v[62:63]
	v_mul_f64 v[42:43], v[60:61], v[42:43]
	s_waitcnt vmcnt(1)
	v_mul_f64 v[125:126], v[14:15], v[38:39]
	s_waitcnt vmcnt(0)
	v_mul_f64 v[127:128], v[18:19], v[34:35]
	v_mul_f64 v[14:15], v[36:37], v[14:15]
	;; [unrolled: 1-line block ×4, first 2 shown]
	v_fma_f64 v[52:53], v[8:9], v[52:53], v[109:110]
	v_fma_f64 v[56:57], v[4:5], v[56:57], v[111:112]
	;; [unrolled: 1-line block ×4, first 2 shown]
	v_fma_f64 v[24:25], v[24:25], v[66:67], -v[26:27]
	v_fma_f64 v[20:21], v[20:21], v[70:71], -v[22:23]
	v_fma_f64 v[22:23], v[28:29], v[76:77], v[117:118]
	v_fma_f64 v[66:67], v[48:49], v[80:81], v[119:120]
	v_fma_f64 v[26:27], v[28:29], v[78:79], -v[30:31]
	v_fma_f64 v[28:29], v[48:49], v[82:83], -v[50:51]
	v_fma_f64 v[8:9], v[8:9], v[54:55], -v[10:11]
	v_fma_f64 v[4:5], v[4:5], v[58:59], -v[6:7]
	v_fma_f64 v[6:7], v[44:45], v[72:73], v[121:122]
	v_fma_f64 v[10:11], v[40:41], v[60:61], v[123:124]
	v_fma_f64 v[40:41], v[40:41], v[62:63], -v[42:43]
	v_fma_f64 v[36:37], v[12:13], v[36:37], v[125:126]
	v_fma_f64 v[32:33], v[16:17], v[32:33], v[127:128]
	v_fma_f64 v[12:13], v[12:13], v[38:39], -v[14:15]
	v_fma_f64 v[14:15], v[16:17], v[34:35], -v[18:19]
	;; [unrolled: 1-line block ×3, first 2 shown]
	v_add_co_u32 v44, vcc_lo, v91, v103
	v_add_co_ci_u32_e32 v45, vcc_lo, v92, v104, vcc_lo
	v_add_co_u32 v46, vcc_lo, v91, v105
	v_add_co_ci_u32_e32 v47, vcc_lo, v92, v106, vcc_lo
	v_add_co_u32 v48, vcc_lo, v91, v107
	v_add_f64 v[34:35], v[22:23], -v[66:67]
	v_add_f64 v[42:43], v[26:27], -v[28:29]
	v_add_f64 v[70:71], v[26:27], v[28:29]
	v_add_f64 v[72:73], v[22:23], v[66:67]
	v_add_f64 v[26:27], v[2:3], v[26:27]
	v_add_f64 v[22:23], v[22:23], v[0:1]
	v_add_co_ci_u32_e32 v49, vcc_lo, v92, v108, vcc_lo
	v_add_f64 v[16:17], v[52:53], -v[56:57]
	v_add_f64 v[18:19], v[64:65], -v[68:69]
	v_add_f64 v[82:83], v[12:13], v[14:15]
	v_add_f64 v[103:104], v[12:13], -v[14:15]
	v_add_f64 v[38:39], v[24:25], -v[20:21]
	;; [unrolled: 1-line block ×5, first 2 shown]
	v_add_f64 v[107:108], v[6:7], v[10:11]
	v_add_f64 v[80:81], v[36:37], -v[32:33]
	v_add_f64 v[60:61], v[8:9], v[4:5]
	v_add_f64 v[62:63], v[24:25], v[20:21]
	;; [unrolled: 1-line block ×4, first 2 shown]
	v_mul_f64 v[113:114], v[34:35], s[22:23]
	v_mul_f64 v[117:118], v[42:43], s[22:23]
	;; [unrolled: 1-line block ×4, first 2 shown]
	v_add_f64 v[12:13], v[12:13], v[26:27]
	v_add_f64 v[22:23], v[36:37], v[22:23]
	v_mul_f64 v[145:146], v[34:35], s[24:25]
	v_mul_f64 v[123:124], v[34:35], s[18:19]
	;; [unrolled: 1-line block ×10, first 2 shown]
	s_mov_b32 s17, 0xbfed1bb4
	v_mul_f64 v[179:180], v[58:59], s[18:19]
	v_mul_f64 v[181:182], v[58:59], s[24:25]
	;; [unrolled: 1-line block ×6, first 2 shown]
	v_add_f64 v[78:79], v[64:65], v[68:69]
	v_add_f64 v[105:106], v[36:37], v[32:33]
	v_mul_f64 v[109:110], v[16:17], s[14:15]
	v_add_f64 v[12:13], v[30:31], v[12:13]
	v_add_f64 v[6:7], v[6:7], v[22:23]
	v_mul_f64 v[121:122], v[18:19], s[22:23]
	v_mul_f64 v[129:130], v[16:17], s[18:19]
	;; [unrolled: 1-line block ×20, first 2 shown]
	v_add_f64 v[12:13], v[24:25], v[12:13]
	v_add_f64 v[6:7], v[64:65], v[6:7]
	v_mul_f64 v[167:168], v[80:81], s[26:27]
	v_mul_f64 v[169:170], v[80:81], s[28:29]
	;; [unrolled: 1-line block ×9, first 2 shown]
	v_fma_f64 v[189:190], v[70:71], s[10:11], v[113:114]
	v_fma_f64 v[191:192], v[72:73], s[10:11], -v[117:118]
	v_fma_f64 v[113:114], v[70:71], s[10:11], -v[113:114]
	;; [unrolled: 1-line block ×3, first 2 shown]
	v_fma_f64 v[127:128], v[72:73], s[6:7], v[127:128]
	v_fma_f64 v[205:206], v[72:73], s[8:9], -v[147:148]
	v_fma_f64 v[147:148], v[72:73], s[8:9], v[147:148]
	v_fma_f64 v[203:204], v[70:71], s[8:9], v[145:146]
	v_fma_f64 v[145:146], v[70:71], s[8:9], -v[145:146]
	v_fma_f64 v[117:118], v[72:73], s[10:11], v[117:118]
	v_fma_f64 v[195:196], v[70:71], s[6:7], v[123:124]
	v_add_f64 v[8:9], v[8:9], v[12:13]
	v_add_f64 v[6:7], v[52:53], v[6:7]
	v_fma_f64 v[123:124], v[70:71], s[6:7], -v[123:124]
	v_fma_f64 v[199:200], v[70:71], s[4:5], v[135:136]
	v_fma_f64 v[135:136], v[70:71], s[4:5], -v[135:136]
	v_fma_f64 v[243:244], v[107:108], s[6:7], -v[179:180]
	v_fma_f64 v[179:180], v[107:108], s[6:7], v[179:180]
	v_fma_f64 v[245:246], v[107:108], s[8:9], -v[181:182]
	v_fma_f64 v[181:182], v[107:108], s[8:9], v[181:182]
	;; [unrolled: 2-line block ×5, first 2 shown]
	v_fma_f64 v[107:108], v[70:71], s[0:1], v[34:35]
	v_fma_f64 v[34:35], v[70:71], s[0:1], -v[34:35]
	v_fma_f64 v[70:71], v[72:73], s[0:1], -v[42:43]
	v_fma_f64 v[42:43], v[72:73], s[0:1], v[42:43]
	v_fma_f64 v[201:202], v[72:73], s[4:5], -v[139:140]
	v_fma_f64 v[139:140], v[72:73], s[4:5], v[139:140]
	v_fma_f64 v[185:186], v[60:61], s[4:5], v[109:110]
	;; [unrolled: 1-line block ×3, first 2 shown]
	v_fma_f64 v[109:110], v[60:61], s[4:5], -v[109:110]
	v_fma_f64 v[111:112], v[62:63], s[0:1], -v[111:112]
	v_fma_f64 v[193:194], v[60:61], s[0:1], v[119:120]
	v_fma_f64 v[119:120], v[60:61], s[0:1], -v[119:120]
	v_fma_f64 v[207:208], v[60:61], s[6:7], v[129:130]
	;; [unrolled: 2-line block ×13, first 2 shown]
	v_fma_f64 v[54:55], v[74:75], s[4:5], -v[54:55]
	v_fma_f64 v[74:75], v[76:77], s[4:5], -v[155:156]
	v_fma_f64 v[155:156], v[76:77], s[4:5], v[155:156]
	v_fma_f64 v[227:228], v[76:77], s[0:1], -v[125:126]
	v_fma_f64 v[125:126], v[76:77], s[0:1], v[125:126]
	v_fma_f64 v[229:230], v[76:77], s[6:7], -v[157:158]
	v_fma_f64 v[157:158], v[76:77], s[6:7], v[157:158]
	v_fma_f64 v[231:232], v[76:77], s[8:9], -v[159:160]
	v_fma_f64 v[159:160], v[76:77], s[8:9], v[159:160]
	v_fma_f64 v[233:234], v[76:77], s[10:11], -v[50:51]
	v_fma_f64 v[30:31], v[76:77], s[10:11], v[50:51]
	v_fma_f64 v[22:23], v[78:79], s[0:1], -v[115:116]
	v_fma_f64 v[50:51], v[78:79], s[0:1], v[115:116]
	v_fma_f64 v[76:77], v[78:79], s[10:11], -v[26:27]
	v_fma_f64 v[26:27], v[78:79], s[10:11], v[26:27]
	v_fma_f64 v[115:116], v[78:79], s[8:9], -v[161:162]
	v_fma_f64 v[161:162], v[78:79], s[8:9], v[161:162]
	v_fma_f64 v[235:236], v[78:79], s[4:5], -v[163:164]
	v_fma_f64 v[163:164], v[78:79], s[4:5], v[163:164]
	v_fma_f64 v[237:238], v[78:79], s[6:7], -v[38:39]
	v_fma_f64 v[38:39], v[78:79], s[6:7], v[38:39]
	v_fma_f64 v[78:79], v[82:83], s[8:9], v[165:166]
	v_fma_f64 v[165:166], v[82:83], s[8:9], -v[165:166]
	v_fma_f64 v[239:240], v[82:83], s[4:5], v[167:168]
	v_fma_f64 v[167:168], v[82:83], s[4:5], -v[167:168]
	;; [unrolled: 2-line block ×4, first 2 shown]
	v_fma_f64 v[64:65], v[105:106], s[8:9], -v[36:37]
	v_fma_f64 v[36:37], v[105:106], s[8:9], v[36:37]
	v_fma_f64 v[72:73], v[105:106], s[4:5], -v[173:174]
	v_fma_f64 v[173:174], v[105:106], s[4:5], v[173:174]
	;; [unrolled: 2-line block ×3, first 2 shown]
	v_fma_f64 v[52:53], v[82:83], s[0:1], v[80:81]
	v_fma_f64 v[80:81], v[82:83], s[0:1], -v[80:81]
	v_fma_f64 v[82:83], v[105:106], s[6:7], -v[177:178]
	v_fma_f64 v[177:178], v[105:106], s[6:7], v[177:178]
	v_fma_f64 v[253:254], v[105:106], s[0:1], -v[103:104]
	v_fma_f64 v[103:104], v[105:106], s[0:1], v[103:104]
	v_add_f64 v[105:106], v[2:3], v[189:190]
	v_add_f64 v[189:190], v[0:1], v[191:192]
	;; [unrolled: 1-line block ×110, first 2 shown]
	v_add_co_u32 v50, vcc_lo, v91, v84
	v_add_co_ci_u32_e32 v51, vcc_lo, v92, v85, vcc_lo
	v_add_co_u32 v52, vcc_lo, v91, v88
	v_add_co_ci_u32_e32 v53, vcc_lo, v92, v89, vcc_lo
	;; [unrolled: 2-line block ×3, first 2 shown]
	global_store_dwordx4 v[93:94], v[24:27], off
	global_store_dwordx4 v[95:96], v[20:23], off
	;; [unrolled: 1-line block ×11, first 2 shown]
.LBB0_19:
	s_endpgm
	.section	.rodata,"a",@progbits
	.p2align	6, 0x0
	.amdhsa_kernel fft_rtc_back_len605_factors_11_5_11_wgs_55_tpt_55_dp_ip_CI_sbrr_dirReg
		.amdhsa_group_segment_fixed_size 0
		.amdhsa_private_segment_fixed_size 0
		.amdhsa_kernarg_size 88
		.amdhsa_user_sgpr_count 6
		.amdhsa_user_sgpr_private_segment_buffer 1
		.amdhsa_user_sgpr_dispatch_ptr 0
		.amdhsa_user_sgpr_queue_ptr 0
		.amdhsa_user_sgpr_kernarg_segment_ptr 1
		.amdhsa_user_sgpr_dispatch_id 0
		.amdhsa_user_sgpr_flat_scratch_init 0
		.amdhsa_user_sgpr_private_segment_size 0
		.amdhsa_wavefront_size32 1
		.amdhsa_uses_dynamic_stack 0
		.amdhsa_system_sgpr_private_segment_wavefront_offset 0
		.amdhsa_system_sgpr_workgroup_id_x 1
		.amdhsa_system_sgpr_workgroup_id_y 0
		.amdhsa_system_sgpr_workgroup_id_z 0
		.amdhsa_system_sgpr_workgroup_info 0
		.amdhsa_system_vgpr_workitem_id 0
		.amdhsa_next_free_vgpr 255
		.amdhsa_next_free_sgpr 32
		.amdhsa_reserve_vcc 1
		.amdhsa_reserve_flat_scratch 0
		.amdhsa_float_round_mode_32 0
		.amdhsa_float_round_mode_16_64 0
		.amdhsa_float_denorm_mode_32 3
		.amdhsa_float_denorm_mode_16_64 3
		.amdhsa_dx10_clamp 1
		.amdhsa_ieee_mode 1
		.amdhsa_fp16_overflow 0
		.amdhsa_workgroup_processor_mode 1
		.amdhsa_memory_ordered 1
		.amdhsa_forward_progress 0
		.amdhsa_shared_vgpr_count 0
		.amdhsa_exception_fp_ieee_invalid_op 0
		.amdhsa_exception_fp_denorm_src 0
		.amdhsa_exception_fp_ieee_div_zero 0
		.amdhsa_exception_fp_ieee_overflow 0
		.amdhsa_exception_fp_ieee_underflow 0
		.amdhsa_exception_fp_ieee_inexact 0
		.amdhsa_exception_int_div_zero 0
	.end_amdhsa_kernel
	.text
.Lfunc_end0:
	.size	fft_rtc_back_len605_factors_11_5_11_wgs_55_tpt_55_dp_ip_CI_sbrr_dirReg, .Lfunc_end0-fft_rtc_back_len605_factors_11_5_11_wgs_55_tpt_55_dp_ip_CI_sbrr_dirReg
                                        ; -- End function
	.section	.AMDGPU.csdata,"",@progbits
; Kernel info:
; codeLenInByte = 10892
; NumSgprs: 34
; NumVgprs: 255
; ScratchSize: 0
; MemoryBound: 1
; FloatMode: 240
; IeeeMode: 1
; LDSByteSize: 0 bytes/workgroup (compile time only)
; SGPRBlocks: 4
; VGPRBlocks: 31
; NumSGPRsForWavesPerEU: 34
; NumVGPRsForWavesPerEU: 255
; Occupancy: 4
; WaveLimiterHint : 1
; COMPUTE_PGM_RSRC2:SCRATCH_EN: 0
; COMPUTE_PGM_RSRC2:USER_SGPR: 6
; COMPUTE_PGM_RSRC2:TRAP_HANDLER: 0
; COMPUTE_PGM_RSRC2:TGID_X_EN: 1
; COMPUTE_PGM_RSRC2:TGID_Y_EN: 0
; COMPUTE_PGM_RSRC2:TGID_Z_EN: 0
; COMPUTE_PGM_RSRC2:TIDIG_COMP_CNT: 0
	.text
	.p2alignl 6, 3214868480
	.fill 48, 4, 3214868480
	.type	__hip_cuid_d7fde766d44ac68d,@object ; @__hip_cuid_d7fde766d44ac68d
	.section	.bss,"aw",@nobits
	.globl	__hip_cuid_d7fde766d44ac68d
__hip_cuid_d7fde766d44ac68d:
	.byte	0                               ; 0x0
	.size	__hip_cuid_d7fde766d44ac68d, 1

	.ident	"AMD clang version 19.0.0git (https://github.com/RadeonOpenCompute/llvm-project roc-6.4.0 25133 c7fe45cf4b819c5991fe208aaa96edf142730f1d)"
	.section	".note.GNU-stack","",@progbits
	.addrsig
	.addrsig_sym __hip_cuid_d7fde766d44ac68d
	.amdgpu_metadata
---
amdhsa.kernels:
  - .args:
      - .actual_access:  read_only
        .address_space:  global
        .offset:         0
        .size:           8
        .value_kind:     global_buffer
      - .offset:         8
        .size:           8
        .value_kind:     by_value
      - .actual_access:  read_only
        .address_space:  global
        .offset:         16
        .size:           8
        .value_kind:     global_buffer
      - .actual_access:  read_only
        .address_space:  global
        .offset:         24
        .size:           8
        .value_kind:     global_buffer
      - .offset:         32
        .size:           8
        .value_kind:     by_value
      - .actual_access:  read_only
        .address_space:  global
        .offset:         40
        .size:           8
        .value_kind:     global_buffer
      - .actual_access:  read_only
        .address_space:  global
        .offset:         48
        .size:           8
        .value_kind:     global_buffer
      - .offset:         56
        .size:           4
        .value_kind:     by_value
      - .actual_access:  read_only
        .address_space:  global
        .offset:         64
        .size:           8
        .value_kind:     global_buffer
      - .actual_access:  read_only
        .address_space:  global
        .offset:         72
        .size:           8
        .value_kind:     global_buffer
      - .address_space:  global
        .offset:         80
        .size:           8
        .value_kind:     global_buffer
    .group_segment_fixed_size: 0
    .kernarg_segment_align: 8
    .kernarg_segment_size: 88
    .language:       OpenCL C
    .language_version:
      - 2
      - 0
    .max_flat_workgroup_size: 55
    .name:           fft_rtc_back_len605_factors_11_5_11_wgs_55_tpt_55_dp_ip_CI_sbrr_dirReg
    .private_segment_fixed_size: 0
    .sgpr_count:     34
    .sgpr_spill_count: 0
    .symbol:         fft_rtc_back_len605_factors_11_5_11_wgs_55_tpt_55_dp_ip_CI_sbrr_dirReg.kd
    .uniform_work_group_size: 1
    .uses_dynamic_stack: false
    .vgpr_count:     255
    .vgpr_spill_count: 0
    .wavefront_size: 32
    .workgroup_processor_mode: 1
amdhsa.target:   amdgcn-amd-amdhsa--gfx1030
amdhsa.version:
  - 1
  - 2
...

	.end_amdgpu_metadata
